;; amdgpu-corpus repo=ROCm/rocFFT kind=compiled arch=gfx1030 opt=O3
	.text
	.amdgcn_target "amdgcn-amd-amdhsa--gfx1030"
	.amdhsa_code_object_version 6
	.protected	fft_rtc_fwd_len416_factors_13_2_16_wgs_64_tpt_32_dp_ip_CI_unitstride_sbrr_dirReg ; -- Begin function fft_rtc_fwd_len416_factors_13_2_16_wgs_64_tpt_32_dp_ip_CI_unitstride_sbrr_dirReg
	.globl	fft_rtc_fwd_len416_factors_13_2_16_wgs_64_tpt_32_dp_ip_CI_unitstride_sbrr_dirReg
	.p2align	8
	.type	fft_rtc_fwd_len416_factors_13_2_16_wgs_64_tpt_32_dp_ip_CI_unitstride_sbrr_dirReg,@function
fft_rtc_fwd_len416_factors_13_2_16_wgs_64_tpt_32_dp_ip_CI_unitstride_sbrr_dirReg: ; @fft_rtc_fwd_len416_factors_13_2_16_wgs_64_tpt_32_dp_ip_CI_unitstride_sbrr_dirReg
; %bb.0:
	s_clause 0x2
	s_load_dwordx4 s[8:11], s[4:5], 0x0
	s_load_dwordx2 s[2:3], s[4:5], 0x50
	s_load_dwordx2 s[12:13], s[4:5], 0x18
	v_lshrrev_b32_e32 v1, 5, v0
	v_mov_b32_e32 v3, 0
	v_lshl_or_b32 v5, s6, 1, v1
	v_mov_b32_e32 v1, 0
	v_mov_b32_e32 v6, v3
	v_mov_b32_e32 v2, 0
	s_waitcnt lgkmcnt(0)
	v_cmp_lt_u64_e64 s0, s[10:11], 2
	s_and_b32 vcc_lo, exec_lo, s0
	s_cbranch_vccnz .LBB0_8
; %bb.1:
	s_load_dwordx2 s[0:1], s[4:5], 0x10
	v_mov_b32_e32 v1, 0
	s_add_u32 s6, s12, 8
	v_mov_b32_e32 v2, 0
	s_addc_u32 s7, s13, 0
	s_mov_b64 s[16:17], 1
	s_waitcnt lgkmcnt(0)
	s_add_u32 s14, s0, 8
	s_addc_u32 s15, s1, 0
.LBB0_2:                                ; =>This Inner Loop Header: Depth=1
	s_load_dwordx2 s[18:19], s[14:15], 0x0
                                        ; implicit-def: $vgpr7_vgpr8
	s_mov_b32 s0, exec_lo
	s_waitcnt lgkmcnt(0)
	v_or_b32_e32 v4, s19, v6
	v_cmpx_ne_u64_e32 0, v[3:4]
	s_xor_b32 s1, exec_lo, s0
	s_cbranch_execz .LBB0_4
; %bb.3:                                ;   in Loop: Header=BB0_2 Depth=1
	v_cvt_f32_u32_e32 v4, s18
	v_cvt_f32_u32_e32 v7, s19
	s_sub_u32 s0, 0, s18
	s_subb_u32 s20, 0, s19
	v_fmac_f32_e32 v4, 0x4f800000, v7
	v_rcp_f32_e32 v4, v4
	v_mul_f32_e32 v4, 0x5f7ffffc, v4
	v_mul_f32_e32 v7, 0x2f800000, v4
	v_trunc_f32_e32 v7, v7
	v_fmac_f32_e32 v4, 0xcf800000, v7
	v_cvt_u32_f32_e32 v7, v7
	v_cvt_u32_f32_e32 v4, v4
	v_mul_lo_u32 v8, s0, v7
	v_mul_hi_u32 v9, s0, v4
	v_mul_lo_u32 v10, s20, v4
	v_add_nc_u32_e32 v8, v9, v8
	v_mul_lo_u32 v9, s0, v4
	v_add_nc_u32_e32 v8, v8, v10
	v_mul_hi_u32 v10, v4, v9
	v_mul_lo_u32 v11, v4, v8
	v_mul_hi_u32 v12, v4, v8
	v_mul_hi_u32 v13, v7, v9
	v_mul_lo_u32 v9, v7, v9
	v_mul_hi_u32 v14, v7, v8
	v_mul_lo_u32 v8, v7, v8
	v_add_co_u32 v10, vcc_lo, v10, v11
	v_add_co_ci_u32_e32 v11, vcc_lo, 0, v12, vcc_lo
	v_add_co_u32 v9, vcc_lo, v10, v9
	v_add_co_ci_u32_e32 v9, vcc_lo, v11, v13, vcc_lo
	v_add_co_ci_u32_e32 v10, vcc_lo, 0, v14, vcc_lo
	v_add_co_u32 v8, vcc_lo, v9, v8
	v_add_co_ci_u32_e32 v9, vcc_lo, 0, v10, vcc_lo
	v_add_co_u32 v4, vcc_lo, v4, v8
	v_add_co_ci_u32_e32 v7, vcc_lo, v7, v9, vcc_lo
	v_mul_hi_u32 v8, s0, v4
	v_mul_lo_u32 v10, s20, v4
	v_mul_lo_u32 v9, s0, v7
	v_add_nc_u32_e32 v8, v8, v9
	v_mul_lo_u32 v9, s0, v4
	v_add_nc_u32_e32 v8, v8, v10
	v_mul_hi_u32 v10, v4, v9
	v_mul_lo_u32 v11, v4, v8
	v_mul_hi_u32 v12, v4, v8
	v_mul_hi_u32 v13, v7, v9
	v_mul_lo_u32 v9, v7, v9
	v_mul_hi_u32 v14, v7, v8
	v_mul_lo_u32 v8, v7, v8
	v_add_co_u32 v10, vcc_lo, v10, v11
	v_add_co_ci_u32_e32 v11, vcc_lo, 0, v12, vcc_lo
	v_add_co_u32 v9, vcc_lo, v10, v9
	v_add_co_ci_u32_e32 v9, vcc_lo, v11, v13, vcc_lo
	v_add_co_ci_u32_e32 v10, vcc_lo, 0, v14, vcc_lo
	v_add_co_u32 v8, vcc_lo, v9, v8
	v_add_co_ci_u32_e32 v9, vcc_lo, 0, v10, vcc_lo
	v_add_co_u32 v4, vcc_lo, v4, v8
	v_add_co_ci_u32_e32 v11, vcc_lo, v7, v9, vcc_lo
	v_mul_hi_u32 v13, v5, v4
	v_mad_u64_u32 v[9:10], null, v6, v4, 0
	v_mad_u64_u32 v[7:8], null, v5, v11, 0
	;; [unrolled: 1-line block ×3, first 2 shown]
	v_add_co_u32 v4, vcc_lo, v13, v7
	v_add_co_ci_u32_e32 v7, vcc_lo, 0, v8, vcc_lo
	v_add_co_u32 v4, vcc_lo, v4, v9
	v_add_co_ci_u32_e32 v4, vcc_lo, v7, v10, vcc_lo
	v_add_co_ci_u32_e32 v7, vcc_lo, 0, v12, vcc_lo
	v_add_co_u32 v4, vcc_lo, v4, v11
	v_add_co_ci_u32_e32 v9, vcc_lo, 0, v7, vcc_lo
	v_mul_lo_u32 v10, s19, v4
	v_mad_u64_u32 v[7:8], null, s18, v4, 0
	v_mul_lo_u32 v11, s18, v9
	v_sub_co_u32 v7, vcc_lo, v5, v7
	v_add3_u32 v8, v8, v11, v10
	v_sub_nc_u32_e32 v10, v6, v8
	v_subrev_co_ci_u32_e64 v10, s0, s19, v10, vcc_lo
	v_add_co_u32 v11, s0, v4, 2
	v_add_co_ci_u32_e64 v12, s0, 0, v9, s0
	v_sub_co_u32 v13, s0, v7, s18
	v_sub_co_ci_u32_e32 v8, vcc_lo, v6, v8, vcc_lo
	v_subrev_co_ci_u32_e64 v10, s0, 0, v10, s0
	v_cmp_le_u32_e32 vcc_lo, s18, v13
	v_cmp_eq_u32_e64 s0, s19, v8
	v_cndmask_b32_e64 v13, 0, -1, vcc_lo
	v_cmp_le_u32_e32 vcc_lo, s19, v10
	v_cndmask_b32_e64 v14, 0, -1, vcc_lo
	v_cmp_le_u32_e32 vcc_lo, s18, v7
	;; [unrolled: 2-line block ×3, first 2 shown]
	v_cndmask_b32_e64 v15, 0, -1, vcc_lo
	v_cmp_eq_u32_e32 vcc_lo, s19, v10
	v_cndmask_b32_e64 v7, v15, v7, s0
	v_cndmask_b32_e32 v10, v14, v13, vcc_lo
	v_add_co_u32 v13, vcc_lo, v4, 1
	v_add_co_ci_u32_e32 v14, vcc_lo, 0, v9, vcc_lo
	v_cmp_ne_u32_e32 vcc_lo, 0, v10
	v_cndmask_b32_e32 v8, v14, v12, vcc_lo
	v_cndmask_b32_e32 v10, v13, v11, vcc_lo
	v_cmp_ne_u32_e32 vcc_lo, 0, v7
	v_cndmask_b32_e32 v8, v9, v8, vcc_lo
	v_cndmask_b32_e32 v7, v4, v10, vcc_lo
.LBB0_4:                                ;   in Loop: Header=BB0_2 Depth=1
	s_andn2_saveexec_b32 s0, s1
	s_cbranch_execz .LBB0_6
; %bb.5:                                ;   in Loop: Header=BB0_2 Depth=1
	v_cvt_f32_u32_e32 v4, s18
	s_sub_i32 s1, 0, s18
	v_rcp_iflag_f32_e32 v4, v4
	v_mul_f32_e32 v4, 0x4f7ffffe, v4
	v_cvt_u32_f32_e32 v4, v4
	v_mul_lo_u32 v7, s1, v4
	v_mul_hi_u32 v7, v4, v7
	v_add_nc_u32_e32 v4, v4, v7
	v_mul_hi_u32 v4, v5, v4
	v_mul_lo_u32 v7, v4, s18
	v_add_nc_u32_e32 v8, 1, v4
	v_sub_nc_u32_e32 v7, v5, v7
	v_subrev_nc_u32_e32 v9, s18, v7
	v_cmp_le_u32_e32 vcc_lo, s18, v7
	v_cndmask_b32_e32 v7, v7, v9, vcc_lo
	v_cndmask_b32_e32 v4, v4, v8, vcc_lo
	v_cmp_le_u32_e32 vcc_lo, s18, v7
	v_add_nc_u32_e32 v8, 1, v4
	v_cndmask_b32_e32 v7, v4, v8, vcc_lo
	v_mov_b32_e32 v8, v3
.LBB0_6:                                ;   in Loop: Header=BB0_2 Depth=1
	s_or_b32 exec_lo, exec_lo, s0
	s_load_dwordx2 s[0:1], s[6:7], 0x0
	v_mul_lo_u32 v4, v8, s18
	v_mul_lo_u32 v11, v7, s19
	v_mad_u64_u32 v[9:10], null, v7, s18, 0
	s_add_u32 s16, s16, 1
	s_addc_u32 s17, s17, 0
	s_add_u32 s6, s6, 8
	s_addc_u32 s7, s7, 0
	;; [unrolled: 2-line block ×3, first 2 shown]
	v_add3_u32 v4, v10, v11, v4
	v_sub_co_u32 v5, vcc_lo, v5, v9
	v_sub_co_ci_u32_e32 v4, vcc_lo, v6, v4, vcc_lo
	s_waitcnt lgkmcnt(0)
	v_mul_lo_u32 v6, s1, v5
	v_mul_lo_u32 v4, s0, v4
	v_mad_u64_u32 v[1:2], null, s0, v5, v[1:2]
	v_cmp_ge_u64_e64 s0, s[16:17], s[10:11]
	s_and_b32 vcc_lo, exec_lo, s0
	v_add3_u32 v2, v6, v2, v4
	s_cbranch_vccnz .LBB0_9
; %bb.7:                                ;   in Loop: Header=BB0_2 Depth=1
	v_mov_b32_e32 v5, v7
	v_mov_b32_e32 v6, v8
	s_branch .LBB0_2
.LBB0_8:
	v_mov_b32_e32 v8, v6
	v_mov_b32_e32 v7, v5
.LBB0_9:
	s_lshl_b64 s[0:1], s[10:11], 3
	v_and_b32_e32 v86, 31, v0
	s_add_u32 s0, s12, s0
	s_addc_u32 s1, s13, s1
	s_load_dwordx2 s[0:1], s[0:1], 0x0
	s_load_dwordx2 s[4:5], s[4:5], 0x20
	v_or_b32_e32 v92, 32, v86
	v_or_b32_e32 v90, 64, v86
	;; [unrolled: 1-line block ×6, first 2 shown]
	s_waitcnt lgkmcnt(0)
	v_mul_lo_u32 v3, s0, v8
	v_mul_lo_u32 v4, s1, v7
	v_mad_u64_u32 v[1:2], null, s0, v7, v[1:2]
	v_cmp_gt_u64_e32 vcc_lo, s[4:5], v[7:8]
	v_cmp_le_u64_e64 s0, s[4:5], v[7:8]
	v_add3_u32 v2, v4, v2, v3
	s_and_saveexec_b32 s1, s0
	s_xor_b32 s0, exec_lo, s1
; %bb.10:
	v_or_b32_e32 v92, 32, v86
	v_or_b32_e32 v90, 64, v86
	;; [unrolled: 1-line block ×6, first 2 shown]
; %bb.11:
	s_or_saveexec_b32 s1, s0
	v_lshlrev_b64 v[65:66], 4, v[1:2]
	v_lshlrev_b32_e32 v85, 4, v86
                                        ; implicit-def: $vgpr51_vgpr52
                                        ; implicit-def: $vgpr47_vgpr48
                                        ; implicit-def: $vgpr43_vgpr44
                                        ; implicit-def: $vgpr39_vgpr40
                                        ; implicit-def: $vgpr35_vgpr36
                                        ; implicit-def: $vgpr27_vgpr28
                                        ; implicit-def: $vgpr23_vgpr24
                                        ; implicit-def: $vgpr15_vgpr16
                                        ; implicit-def: $vgpr11_vgpr12
                                        ; implicit-def: $vgpr7_vgpr8
                                        ; implicit-def: $vgpr19_vgpr20
                                        ; implicit-def: $vgpr31_vgpr32
                                        ; implicit-def: $vgpr3_vgpr4
	s_xor_b32 exec_lo, exec_lo, s1
	s_cbranch_execz .LBB0_13
; %bb.12:
	v_add_co_u32 v13, s0, s2, v65
	v_add_co_ci_u32_e64 v14, s0, s3, v66, s0
	v_lshlrev_b32_e32 v7, 4, v88
	v_add_co_u32 v5, s0, v13, v85
	v_add_co_ci_u32_e64 v6, s0, 0, v14, s0
	v_lshlrev_b32_e32 v8, 4, v87
	v_lshlrev_b32_e32 v9, 4, v91
	v_or_b32_e32 v11, 0xe00, v85
	s_clause 0x3
	global_load_dwordx4 v[1:4], v[5:6], off
	global_load_dwordx4 v[49:52], v[5:6], off offset:512
	global_load_dwordx4 v[45:48], v[5:6], off offset:1024
	;; [unrolled: 1-line block ×3, first 2 shown]
	v_add_co_u32 v5, s0, v13, v7
	v_add_co_ci_u32_e64 v6, s0, 0, v14, s0
	v_add_co_u32 v7, s0, v13, v8
	v_add_co_ci_u32_e64 v8, s0, 0, v14, s0
	;; [unrolled: 2-line block ×3, first 2 shown]
	v_add_co_u32 v11, s0, v13, v11
	s_clause 0x1
	global_load_dwordx4 v[37:40], v[5:6], off
	global_load_dwordx4 v[33:36], v[7:8], off
	v_or_b32_e32 v5, 0x1000, v85
	v_add_co_ci_u32_e64 v12, s0, 0, v14, s0
	v_or_b32_e32 v7, 0x1200, v85
	s_clause 0x1
	global_load_dwordx4 v[29:32], v[9:10], off
	global_load_dwordx4 v[25:28], v[11:12], off
	v_add_co_u32 v5, s0, v13, v5
	v_or_b32_e32 v9, 0x1400, v85
	v_add_co_ci_u32_e64 v6, s0, 0, v14, s0
	v_add_co_u32 v7, s0, v13, v7
	v_or_b32_e32 v11, 0x1600, v85
	v_add_co_ci_u32_e64 v8, s0, 0, v14, s0
	;; [unrolled: 3-line block ×3, first 2 shown]
	v_add_co_u32 v11, s0, v13, v11
	v_add_co_ci_u32_e64 v12, s0, 0, v14, s0
	v_add_co_u32 v53, s0, v13, v15
	v_add_co_ci_u32_e64 v54, s0, 0, v14, s0
	s_clause 0x4
	global_load_dwordx4 v[21:24], v[5:6], off
	global_load_dwordx4 v[17:20], v[7:8], off
	;; [unrolled: 1-line block ×5, first 2 shown]
.LBB0_13:
	s_or_b32 exec_lo, exec_lo, s1
	s_waitcnt vmcnt(11)
	v_add_f64 v[53:54], v[49:50], v[1:2]
	v_add_f64 v[55:56], v[51:52], v[3:4]
	s_waitcnt vmcnt(0)
	v_add_f64 v[59:60], v[51:52], -v[7:8]
	v_add_f64 v[79:80], v[49:50], v[5:6]
	v_add_f64 v[81:82], v[49:50], -v[5:6]
	v_add_f64 v[77:78], v[45:46], v[9:10]
	v_add_f64 v[49:50], v[47:48], v[11:12]
	v_add_f64 v[61:62], v[45:46], -v[9:10]
	v_add_f64 v[75:76], v[41:42], v[13:14]
	;; [unrolled: 3-line block ×3, first 2 shown]
	v_add_f64 v[73:74], v[29:30], -v[25:26]
	v_add_f64 v[63:64], v[31:32], -v[27:28]
	s_mov_b32 s0, 0xe00740e9
	s_mov_b32 s4, 0x4267c47c
	;; [unrolled: 1-line block ×8, first 2 shown]
	v_add_f64 v[53:54], v[45:46], v[53:54]
	v_add_f64 v[55:56], v[47:48], v[55:56]
	v_add_f64 v[45:46], v[47:48], -v[11:12]
	v_add_f64 v[47:48], v[43:44], v[15:16]
	v_mul_f64 v[95:96], v[81:82], s[20:21]
	s_mov_b32 s7, 0x3fe22d96
	s_mov_b32 s11, 0x3fea55e2
	;; [unrolled: 1-line block ×4, first 2 shown]
	v_mul_f64 v[121:122], v[77:78], s[6:7]
	v_mul_f64 v[123:124], v[61:62], s[14:15]
	;; [unrolled: 1-line block ×3, first 2 shown]
	s_mov_b32 s12, 0xebaa3ed8
	s_mov_b32 s16, 0x66966769
	;; [unrolled: 1-line block ×10, first 2 shown]
	v_add_f64 v[57:58], v[41:42], v[53:54]
	v_add_f64 v[55:56], v[43:44], v[55:56]
	;; [unrolled: 1-line block ×3, first 2 shown]
	s_mov_b32 s35, 0xbfef11f4
	s_mov_b32 s22, s16
	;; [unrolled: 1-line block ×5, first 2 shown]
	v_mul_f64 v[99:100], v[79:80], s[12:13]
	v_mul_f64 v[101:102], v[79:80], s[18:19]
	;; [unrolled: 1-line block ×7, first 2 shown]
	v_fma_f64 v[175:176], v[45:46], s[10:11], v[121:122]
	v_fma_f64 v[177:178], v[49:50], s[6:7], v[123:124]
	;; [unrolled: 1-line block ×3, first 2 shown]
	s_mov_b32 s29, 0x3fedeba7
	s_mov_b32 s25, 0xbfedeba7
	;; [unrolled: 1-line block ×4, first 2 shown]
	v_add_f64 v[51:52], v[37:38], v[57:58]
	v_add_f64 v[55:56], v[39:40], v[55:56]
	v_add_f64 v[57:58], v[37:38], -v[17:18]
	v_fma_f64 v[157:158], v[53:54], s[0:1], v[95:96]
	v_fma_f64 v[95:96], v[53:54], s[0:1], -v[95:96]
	s_mov_b32 s37, 0x3fcea1e5
	s_mov_b32 s41, 0xbfcea1e5
	;; [unrolled: 1-line block ×5, first 2 shown]
	v_mul_f64 v[115:116], v[81:82], s[24:25]
	v_mul_f64 v[117:118], v[81:82], s[30:31]
	;; [unrolled: 1-line block ×4, first 2 shown]
	v_fma_f64 v[173:174], v[59:60], s[10:11], v[97:98]
	v_fma_f64 v[123:124], v[49:50], s[6:7], -v[123:124]
	v_mul_f64 v[141:142], v[77:78], s[34:35]
	v_mul_f64 v[143:144], v[61:62], s[40:41]
	v_fma_f64 v[97:98], v[59:60], s[14:15], v[97:98]
	v_fma_f64 v[179:180], v[59:60], s[16:17], v[99:100]
	;; [unrolled: 1-line block ×4, first 2 shown]
	v_add_f64 v[83:84], v[33:34], v[51:52]
	v_add_f64 v[93:94], v[35:36], v[55:56]
	v_add_f64 v[51:52], v[41:42], -v[13:14]
	v_add_f64 v[41:42], v[43:44], -v[15:16]
	v_add_f64 v[55:56], v[37:38], v[17:18]
	v_add_f64 v[43:44], v[39:40], v[19:20]
	v_add_f64 v[37:38], v[39:40], -v[19:20]
	v_add_f64 v[39:40], v[35:36], v[23:24]
	v_add_f64 v[33:34], v[35:36], -v[23:24]
	v_add_f64 v[35:36], v[27:28], v[31:32]
	v_add_f64 v[157:158], v[157:158], v[3:4]
	;; [unrolled: 1-line block ×3, first 2 shown]
	v_mul_f64 v[131:132], v[57:58], s[24:25]
	v_fma_f64 v[183:184], v[59:60], s[28:29], v[101:102]
	v_fma_f64 v[101:102], v[59:60], s[24:25], v[101:102]
	;; [unrolled: 1-line block ×3, first 2 shown]
	v_mul_f64 v[155:156], v[77:78], s[26:27]
	v_mul_f64 v[159:160], v[61:62], s[38:39]
	v_fma_f64 v[185:186], v[45:46], s[28:29], v[81:82]
	v_fma_f64 v[107:108], v[53:54], s[6:7], -v[107:108]
	v_mul_f64 v[135:136], v[69:70], s[30:31]
	v_add_f64 v[181:182], v[181:182], v[3:4]
	v_add_f64 v[29:30], v[29:30], v[83:84]
	;; [unrolled: 1-line block ×3, first 2 shown]
	v_mul_f64 v[93:94], v[79:80], s[0:1]
	v_mul_f64 v[127:128], v[51:52], s[22:23]
	;; [unrolled: 1-line block ×3, first 2 shown]
	v_fma_f64 v[189:190], v[41:42], s[16:17], v[125:126]
	v_mul_f64 v[129:130], v[55:56], s[18:19]
	v_mul_f64 v[79:80], v[51:52], s[40:41]
	v_add_f64 v[179:180], v[179:180], v[1:2]
	v_mul_f64 v[133:134], v[67:68], s[26:27]
	v_add_f64 v[157:158], v[177:178], v[157:158]
	v_add_f64 v[95:96], v[123:124], v[95:96]
	v_fma_f64 v[123:124], v[53:54], s[34:35], v[119:120]
	v_mul_f64 v[145:146], v[51:52], s[28:29]
	v_mul_f64 v[163:164], v[75:76], s[0:1]
	;; [unrolled: 1-line block ×4, first 2 shown]
	v_add_f64 v[183:184], v[183:184], v[1:2]
	v_mul_f64 v[139:140], v[73:74], s[40:41]
	v_mul_f64 v[137:138], v[71:72], s[34:35]
	;; [unrolled: 1-line block ×4, first 2 shown]
	v_add_f64 v[111:112], v[25:26], v[29:30]
	v_add_f64 v[113:114], v[27:28], v[31:32]
	v_fma_f64 v[153:154], v[59:60], s[4:5], v[93:94]
	v_fma_f64 v[93:94], v[59:60], s[20:21], v[93:94]
	v_mul_f64 v[31:32], v[75:76], s[34:35]
	v_fma_f64 v[177:178], v[49:50], s[18:19], v[83:84]
	v_mul_f64 v[27:28], v[57:58], s[38:39]
	v_mul_f64 v[29:30], v[55:56], s[26:27]
	;; [unrolled: 1-line block ×3, first 2 shown]
	v_add_f64 v[107:108], v[107:108], v[3:4]
	v_add_f64 v[187:188], v[187:188], v[1:2]
	;; [unrolled: 1-line block ×6, first 2 shown]
	v_mul_f64 v[161:162], v[69:70], s[14:15]
	v_mul_f64 v[25:26], v[67:68], s[12:13]
	;; [unrolled: 1-line block ×4, first 2 shown]
	v_fma_f64 v[81:82], v[45:46], s[24:25], v[81:82]
	v_fma_f64 v[83:84], v[49:50], s[18:19], -v[83:84]
	v_mul_f64 v[151:152], v[67:68], s[6:7]
	v_add_f64 v[111:112], v[21:22], v[111:112]
	v_add_f64 v[113:114], v[23:24], v[113:114]
	;; [unrolled: 1-line block ×4, first 2 shown]
	v_mul_f64 v[21:22], v[69:70], s[16:17]
	v_add_f64 v[177:178], v[177:178], v[181:182]
	v_fma_f64 v[181:182], v[33:34], s[38:39], v[133:134]
	v_fma_f64 v[133:134], v[33:34], s[30:31], v[133:134]
	v_mul_f64 v[23:24], v[75:76], s[18:19]
	v_and_b32_e32 v0, 32, v0
	v_fma_f64 v[191:192], v[45:46], s[20:21], v[77:78]
	v_fma_f64 v[77:78], v[45:46], s[4:5], v[77:78]
	v_add_f64 v[17:18], v[17:18], v[111:112]
	v_add_f64 v[19:20], v[19:20], v[113:114]
	;; [unrolled: 1-line block ×4, first 2 shown]
	v_fma_f64 v[175:176], v[53:54], s[18:19], v[115:116]
	v_fma_f64 v[115:116], v[53:54], s[18:19], -v[115:116]
	v_fma_f64 v[121:122], v[53:54], s[26:27], v[117:118]
	v_fma_f64 v[117:118], v[53:54], s[26:27], -v[117:118]
	v_mul_f64 v[111:112], v[61:62], s[16:17]
	v_mul_f64 v[113:114], v[75:76], s[6:7]
	;; [unrolled: 1-line block ×4, first 2 shown]
	v_add_f64 v[13:14], v[13:14], v[17:18]
	v_add_f64 v[15:16], v[15:16], v[19:20]
	v_fma_f64 v[17:18], v[47:48], s[12:13], v[127:128]
	v_fma_f64 v[19:20], v[59:60], s[30:31], v[103:104]
	;; [unrolled: 1-line block ×3, first 2 shown]
	v_fma_f64 v[125:126], v[47:48], s[12:13], -v[127:128]
	v_fma_f64 v[127:128], v[59:60], s[36:37], v[105:106]
	v_fma_f64 v[59:60], v[59:60], s[40:41], v[105:106]
	;; [unrolled: 1-line block ×3, first 2 shown]
	v_fma_f64 v[109:110], v[53:54], s[12:13], -v[109:110]
	v_fma_f64 v[53:54], v[53:54], s[34:35], -v[119:120]
	v_add_f64 v[119:120], v[173:174], v[1:2]
	v_fma_f64 v[173:174], v[45:46], s[36:37], v[141:142]
	v_add_f64 v[153:154], v[189:190], v[153:154]
	v_fma_f64 v[189:190], v[49:50], s[26:27], v[159:160]
	v_add_f64 v[175:176], v[175:176], v[3:4]
	v_add_f64 v[115:116], v[115:116], v[3:4]
	v_add_f64 v[121:122], v[121:122], v[3:4]
	v_add_f64 v[117:118], v[117:118], v[3:4]
	v_add_f64 v[9:10], v[9:10], v[13:14]
	v_fma_f64 v[13:14], v[49:50], s[34:35], v[143:144]
	v_add_f64 v[17:18], v[17:18], v[157:158]
	v_fma_f64 v[157:158], v[37:38], s[28:29], v[129:130]
	v_add_f64 v[93:94], v[103:104], v[93:94]
	v_fma_f64 v[103:104], v[43:44], s[18:19], v[131:132]
	v_fma_f64 v[129:130], v[37:38], s[24:25], v[129:130]
	v_add_f64 v[11:12], v[11:12], v[15:16]
	v_add_f64 v[105:106], v[105:106], v[3:4]
	v_fma_f64 v[15:16], v[45:46], s[30:31], v[155:156]
	v_add_f64 v[95:96], v[125:126], v[95:96]
	v_fma_f64 v[131:132], v[43:44], s[18:19], -v[131:132]
	v_add_f64 v[119:120], v[185:186], v[119:120]
	v_fma_f64 v[185:186], v[41:42], s[36:37], v[31:32]
	v_add_f64 v[173:174], v[173:174], v[179:180]
	v_fma_f64 v[179:180], v[39:40], s[26:27], v[135:136]
	v_mul_f64 v[125:126], v[51:52], s[14:15]
	v_fma_f64 v[135:136], v[39:40], s[26:27], -v[135:136]
	v_add_f64 v[175:176], v[189:190], v[175:176]
	v_add_f64 v[109:110], v[109:110], v[3:4]
	v_add_f64 v[53:54], v[53:54], v[3:4]
	v_fma_f64 v[3:4], v[45:46], s[22:23], v[171:172]
	v_add_f64 v[19:20], v[19:20], v[1:2]
	v_add_f64 v[127:128], v[127:128], v[1:2]
	;; [unrolled: 1-line block ×4, first 2 shown]
	v_fma_f64 v[1:2], v[35:36], s[34:35], v[139:140]
	v_add_f64 v[17:18], v[103:104], v[17:18]
	v_fma_f64 v[103:104], v[47:48], s[18:19], v[145:146]
	v_add_f64 v[93:94], v[129:130], v[93:94]
	v_add_f64 v[13:14], v[13:14], v[105:106]
	v_fma_f64 v[105:106], v[47:48], s[34:35], v[79:80]
	v_add_f64 v[15:16], v[15:16], v[183:184]
	v_fma_f64 v[129:130], v[41:42], s[20:21], v[163:164]
	;; [unrolled: 2-line block ×4, first 2 shown]
	v_fma_f64 v[157:158], v[63:64], s[36:37], v[137:138]
	v_fma_f64 v[137:138], v[63:64], s[40:41], v[137:138]
	;; [unrolled: 1-line block ×3, first 2 shown]
	v_add_f64 v[7:8], v[7:8], v[11:12]
	v_fma_f64 v[139:140], v[35:36], s[34:35], -v[139:140]
	v_add_f64 v[3:4], v[3:4], v[187:188]
	v_fma_f64 v[189:190], v[41:42], s[24:25], v[23:24]
	v_mul_f64 v[51:52], v[51:52], s[30:31]
	v_mul_f64 v[187:188], v[57:58], s[36:37]
	v_add_f64 v[153:154], v[181:182], v[153:154]
	v_fma_f64 v[181:182], v[47:48], s[6:7], v[125:126]
	v_add_f64 v[17:18], v[179:180], v[17:18]
	v_fma_f64 v[179:180], v[41:42], s[10:11], v[113:114]
	v_add_f64 v[93:94], v[133:134], v[93:94]
	v_add_f64 v[13:14], v[103:104], v[13:14]
	;; [unrolled: 1-line block ×3, first 2 shown]
	v_fma_f64 v[177:178], v[43:44], s[26:27], v[27:28]
	v_fma_f64 v[103:104], v[43:44], s[0:1], v[149:150]
	v_add_f64 v[95:96], v[135:136], v[95:96]
	v_add_f64 v[15:16], v[129:130], v[15:16]
	v_add_f64 v[129:130], v[131:132], v[175:176]
	v_fma_f64 v[131:132], v[37:38], s[16:17], v[167:168]
	v_fma_f64 v[133:134], v[43:44], s[12:13], v[169:170]
	v_mul_f64 v[135:136], v[67:68], s[34:35]
	v_mul_f64 v[175:176], v[69:70], s[36:37]
	v_add_f64 v[121:122], v[185:186], v[121:122]
	v_mul_f64 v[185:186], v[55:56], s[34:35]
	v_add_f64 v[119:120], v[183:184], v[119:120]
	v_fma_f64 v[183:184], v[33:34], s[22:23], v[25:26]
	v_add_f64 v[173:174], v[189:190], v[173:174]
	v_fma_f64 v[189:190], v[37:38], s[20:21], v[147:148]
	v_add_f64 v[59:60], v[77:78], v[59:60]
	v_add_f64 v[77:78], v[83:84], v[107:108]
	;; [unrolled: 1-line block ×3, first 2 shown]
	v_fma_f64 v[17:18], v[39:40], s[12:13], v[21:22]
	v_add_f64 v[1:2], v[137:138], v[93:94]
	v_fma_f64 v[93:94], v[39:40], s[6:7], v[161:162]
	v_fma_f64 v[31:32], v[41:42], s[40:41], v[31:32]
	v_add_f64 v[105:106], v[177:178], v[105:106]
	v_add_f64 v[13:14], v[103:104], v[13:14]
	v_fma_f64 v[177:178], v[49:50], s[0:1], v[61:62]
	v_fma_f64 v[61:62], v[49:50], s[0:1], -v[61:62]
	v_add_f64 v[127:128], v[191:192], v[127:128]
	v_add_f64 v[15:16], v[131:132], v[15:16]
	;; [unrolled: 1-line block ×3, first 2 shown]
	v_fma_f64 v[129:130], v[33:34], s[40:41], v[135:136]
	v_fma_f64 v[131:132], v[39:40], s[34:35], v[175:176]
	v_add_f64 v[133:134], v[179:180], v[3:4]
	v_add_f64 v[121:122], v[181:182], v[121:122]
	v_fma_f64 v[137:138], v[37:38], s[40:41], v[185:186]
	v_mul_f64 v[181:182], v[71:72], s[0:1]
	v_add_f64 v[3:4], v[139:140], v[95:96]
	v_add_f64 v[95:96], v[183:184], v[119:120]
	v_fma_f64 v[139:140], v[49:50], s[34:35], -v[143:144]
	v_fma_f64 v[179:180], v[41:42], s[38:39], v[75:76]
	v_mul_f64 v[55:56], v[55:56], s[6:7]
	v_fma_f64 v[23:24], v[41:42], s[28:29], v[23:24]
	v_mul_f64 v[57:58], v[57:58], s[10:11]
	v_fma_f64 v[75:76], v[41:42], s[30:31], v[75:76]
	v_fma_f64 v[107:108], v[47:48], s[18:19], -v[145:146]
	v_add_f64 v[17:18], v[17:18], v[105:106]
	v_fma_f64 v[105:106], v[45:46], s[40:41], v[141:142]
	v_add_f64 v[93:94], v[93:94], v[13:14]
	v_fma_f64 v[13:14], v[45:46], s[38:39], v[155:156]
	v_fma_f64 v[45:46], v[45:46], s[16:17], v[171:172]
	v_add_f64 v[53:54], v[61:62], v[53:54]
	v_add_f64 v[61:62], v[81:82], v[97:98]
	;; [unrolled: 1-line block ×3, first 2 shown]
	v_fma_f64 v[15:16], v[49:50], s[26:27], -v[159:160]
	v_add_f64 v[103:104], v[131:132], v[103:104]
	v_fma_f64 v[49:50], v[49:50], s[12:13], -v[111:112]
	v_add_f64 v[131:132], v[137:138], v[133:134]
	v_fma_f64 v[133:134], v[63:64], s[20:21], v[181:182]
	v_add_f64 v[123:124], v[177:178], v[123:124]
	v_add_f64 v[5:6], v[5:6], v[9:10]
	;; [unrolled: 1-line block ×4, first 2 shown]
	v_fma_f64 v[173:174], v[43:44], s[34:35], v[187:188]
	v_add_f64 v[127:128], v[179:180], v[127:128]
	v_fma_f64 v[29:30], v[37:38], s[38:39], v[29:30]
	v_add_f64 v[59:60], v[75:76], v[59:60]
	v_fma_f64 v[27:28], v[43:44], s[26:27], -v[27:28]
	v_mul_f64 v[111:112], v[73:74], s[4:5]
	v_add_f64 v[83:84], v[105:106], v[99:100]
	v_fma_f64 v[99:100], v[47:48], s[26:27], v[51:52]
	v_fma_f64 v[51:52], v[47:48], s[26:27], -v[51:52]
	v_add_f64 v[19:20], v[45:46], v[19:20]
	v_fma_f64 v[45:46], v[47:48], s[34:35], -v[79:80]
	v_add_f64 v[105:106], v[139:140], v[109:110]
	v_add_f64 v[101:102], v[13:14], v[101:102]
	;; [unrolled: 1-line block ×3, first 2 shown]
	v_fma_f64 v[109:110], v[47:48], s[0:1], -v[165:166]
	v_add_f64 v[49:50], v[49:50], v[117:118]
	v_fma_f64 v[47:48], v[47:48], s[6:7], -v[125:126]
	v_add_f64 v[13:14], v[133:134], v[95:96]
	v_fma_f64 v[95:96], v[41:42], s[4:5], v[163:164]
	v_fma_f64 v[41:42], v[41:42], s[14:15], v[113:114]
	v_add_f64 v[31:32], v[31:32], v[61:62]
	v_mul_f64 v[61:62], v[69:70], s[4:5]
	v_mul_f64 v[69:70], v[69:70], s[24:25]
	v_fma_f64 v[157:158], v[33:34], s[10:11], v[151:152]
	v_mul_f64 v[81:82], v[71:72], s[26:27]
	v_mul_f64 v[97:98], v[73:74], s[30:31]
	;; [unrolled: 1-line block ×4, first 2 shown]
	v_add_f64 v[23:24], v[23:24], v[83:84]
	v_add_f64 v[99:100], v[99:100], v[123:124]
	;; [unrolled: 1-line block ×3, first 2 shown]
	v_mul_f64 v[53:54], v[67:68], s[0:1]
	v_add_f64 v[45:46], v[45:46], v[77:78]
	v_fma_f64 v[77:78], v[37:38], s[14:15], v[55:56]
	v_fma_f64 v[83:84], v[43:44], s[6:7], v[57:58]
	v_mul_f64 v[67:68], v[67:68], s[18:19]
	v_fma_f64 v[55:56], v[37:38], s[10:11], v[55:56]
	v_fma_f64 v[57:58], v[43:44], s[6:7], -v[57:58]
	v_add_f64 v[105:106], v[107:108], v[105:106]
	v_add_f64 v[15:16], v[109:110], v[15:16]
	;; [unrolled: 1-line block ×5, first 2 shown]
	v_fma_f64 v[47:48], v[37:38], s[4:5], v[147:148]
	v_fma_f64 v[49:50], v[43:44], s[0:1], -v[149:150]
	v_fma_f64 v[101:102], v[37:38], s[22:23], v[167:168]
	v_fma_f64 v[107:108], v[43:44], s[12:13], -v[169:170]
	;; [unrolled: 2-line block ×3, first 2 shown]
	v_add_f64 v[121:122], v[173:174], v[121:122]
	v_fma_f64 v[123:124], v[39:40], s[0:1], v[61:62]
	v_mul_f64 v[125:126], v[71:72], s[18:19]
	v_mul_f64 v[133:134], v[73:74], s[24:25]
	v_fma_f64 v[109:110], v[33:34], s[20:21], v[53:54]
	v_mul_f64 v[71:72], v[71:72], s[12:13]
	v_add_f64 v[77:78], v[77:78], v[127:128]
	v_add_f64 v[83:84], v[83:84], v[99:100]
	v_fma_f64 v[99:100], v[33:34], s[28:29], v[67:68]
	v_fma_f64 v[127:128], v[39:40], s[18:19], v[69:70]
	v_mul_f64 v[73:74], v[73:74], s[16:17]
	v_add_f64 v[55:56], v[55:56], v[59:60]
	v_add_f64 v[51:52], v[57:58], v[51:52]
	v_fma_f64 v[57:58], v[33:34], s[24:25], v[67:68]
	v_fma_f64 v[59:60], v[39:40], s[18:19], -v[69:70]
	v_add_f64 v[29:30], v[29:30], v[31:32]
	v_add_f64 v[27:28], v[27:28], v[45:46]
	;; [unrolled: 1-line block ×8, first 2 shown]
	v_fma_f64 v[25:26], v[33:34], s[16:17], v[25:26]
	v_fma_f64 v[21:22], v[39:40], s[12:13], -v[21:22]
	v_fma_f64 v[41:42], v[33:34], s[14:15], v[151:152]
	v_fma_f64 v[43:44], v[39:40], s[6:7], -v[161:162]
	;; [unrolled: 2-line block ×4, first 2 shown]
	v_fma_f64 v[79:80], v[35:36], s[0:1], v[111:112]
	v_add_f64 v[119:120], v[157:158], v[153:154]
	v_fma_f64 v[113:114], v[63:64], s[38:39], v[81:82]
	v_fma_f64 v[115:116], v[35:36], s[26:27], v[97:98]
	;; [unrolled: 1-line block ×4, first 2 shown]
	v_add_f64 v[67:68], v[109:110], v[131:132]
	v_add_f64 v[69:70], v[123:124], v[121:122]
	v_fma_f64 v[95:96], v[63:64], s[28:29], v[125:126]
	v_fma_f64 v[101:102], v[35:36], s[18:19], v[133:134]
	v_add_f64 v[77:78], v[99:100], v[77:78]
	v_add_f64 v[83:84], v[127:128], v[83:84]
	v_fma_f64 v[99:100], v[63:64], s[22:23], v[71:72]
	v_fma_f64 v[105:106], v[35:36], s[12:13], v[73:74]
	v_add_f64 v[55:56], v[57:58], v[55:56]
	v_add_f64 v[51:52], v[59:60], v[51:52]
	v_fma_f64 v[57:58], v[63:64], s[16:17], v[71:72]
	v_fma_f64 v[59:60], v[35:36], s[12:13], -v[73:74]
	v_add_f64 v[45:46], v[47:48], v[45:46]
	v_add_f64 v[47:48], v[49:50], v[15:16]
	;; [unrolled: 1-line block ×4, first 2 shown]
	v_fma_f64 v[37:38], v[63:64], s[4:5], v[181:182]
	v_fma_f64 v[81:82], v[63:64], s[30:31], v[81:82]
	v_fma_f64 v[107:108], v[63:64], s[10:11], v[117:118]
	v_fma_f64 v[63:64], v[63:64], s[24:25], v[125:126]
	v_fma_f64 v[109:110], v[35:36], s[18:19], -v[133:134]
	v_fma_f64 v[75:76], v[35:36], s[6:7], -v[75:76]
	v_add_f64 v[41:42], v[41:42], v[23:24]
	v_add_f64 v[43:44], v[43:44], v[31:32]
	v_fma_f64 v[97:98], v[35:36], s[26:27], -v[97:98]
	v_add_f64 v[71:72], v[25:26], v[29:30]
	v_add_f64 v[73:74], v[21:22], v[27:28]
	v_fma_f64 v[111:112], v[35:36], s[0:1], -v[111:112]
	v_add_f64 v[15:16], v[79:80], v[17:18]
	v_cmp_ne_u32_e64 s0, 0, v0
	v_add_f64 v[17:18], v[113:114], v[119:120]
	v_add_f64 v[19:20], v[115:116], v[93:94]
	v_add_f64 v[21:22], v[53:54], v[129:130]
	v_add_f64 v[23:24], v[61:62], v[103:104]
	v_add_f64 v[25:26], v[95:96], v[67:68]
	v_add_f64 v[27:28], v[101:102], v[69:70]
	v_add_f64 v[29:30], v[99:100], v[77:78]
	v_add_f64 v[31:32], v[105:106], v[83:84]
	v_add_f64 v[33:34], v[57:58], v[55:56]
	v_add_f64 v[35:36], v[59:60], v[51:52]
	v_cndmask_b32_e64 v0, 0, 0x1a0, s0
	v_add_f64 v[49:50], v[63:64], v[49:50]
	v_add_f64 v[51:52], v[109:110], v[39:40]
	;; [unrolled: 1-line block ×7, first 2 shown]
	v_lshl_add_u32 v53, v0, 4, 0
	v_add_f64 v[39:40], v[111:112], v[73:74]
	v_cmp_gt_u32_e64 s0, 16, v86
	v_lshlrev_b32_e32 v59, 4, v0
	v_mad_u32_u24 v54, 0xd0, v86, v53
	ds_write_b128 v54, v[5:8]
	ds_write_b128 v54, v[9:12] offset:16
	ds_write_b128 v54, v[13:16] offset:32
	;; [unrolled: 1-line block ×12, first 2 shown]
	v_lshl_add_u32 v58, v86, 4, v53
	v_mad_i32_i24 v57, 0xffffff40, v86, v54
	v_lshl_add_u32 v21, v90, 4, v53
	v_lshl_add_u32 v22, v89, 4, v53
	;; [unrolled: 1-line block ×5, first 2 shown]
	s_waitcnt lgkmcnt(0)
	s_barrier
	buffer_gl0_inv
	ds_read_b128 v[5:8], v58
	ds_read_b128 v[9:12], v57 offset:3328
	ds_read_b128 v[17:20], v57 offset:3840
	ds_read_b128 v[13:16], v57 offset:4352
	ds_read_b128 v[25:28], v21
	ds_read_b128 v[41:44], v22
	ds_read_b128 v[33:36], v57 offset:4864
	ds_read_b128 v[21:24], v57 offset:5376
	ds_read_b128 v[45:48], v30
	ds_read_b128 v[53:56], v31
	;; [unrolled: 1-line block ×3, first 2 shown]
	ds_read_b128 v[37:40], v57 offset:5888
                                        ; implicit-def: $vgpr51_vgpr52
	s_and_saveexec_b32 s1, s0
	s_cbranch_execz .LBB0_15
; %bb.14:
	v_lshlrev_b32_e32 v0, 4, v91
	v_add3_u32 v0, 0, v0, v59
	ds_read_b128 v[1:4], v0
	ds_read_b128 v[49:52], v57 offset:6400
.LBB0_15:
	s_or_b32 exec_lo, exec_lo, s1
	v_mul_lo_u16 v60, v86, 20
	v_and_b32_e32 v62, 0xff, v90
	v_and_b32_e32 v63, 0xff, v89
	;; [unrolled: 1-line block ×4, first 2 shown]
	v_lshrrev_b16 v109, 8, v60
	v_and_b32_e32 v67, 0xff, v87
	v_mul_lo_u16 v60, 0x4f, v62
	v_and_b32_e32 v68, 0xff, v91
	v_mul_lo_u16 v62, 0x4f, v63
	v_mul_lo_u16 v63, 0x4f, v64
	;; [unrolled: 1-line block ×5, first 2 shown]
	v_lshrrev_b16 v110, 10, v60
	v_mov_b32_e32 v61, 4
	v_mul_lo_u16 v68, 0x4f, v68
	v_sub_nc_u16 v60, v86, v64
	v_lshrrev_b16 v111, 10, v62
	v_lshrrev_b16 v112, 10, v63
	;; [unrolled: 1-line block ×4, first 2 shown]
	v_mul_lo_u16 v62, v110, 13
	v_lshlrev_b32_sdwa v114, v61, v60 dst_sel:DWORD dst_unused:UNUSED_PAD src0_sel:DWORD src1_sel:BYTE_0
	v_lshrrev_b16 v60, 10, v68
	v_mul_lo_u16 v63, v111, 13
	v_mul_lo_u16 v75, v112, 13
	;; [unrolled: 1-line block ×3, first 2 shown]
	v_sub_nc_u16 v62, v90, v62
	v_mul_lo_u16 v76, v113, 13
	v_sub_nc_u16 v63, v89, v63
	v_mul_lo_u16 v77, v60, 13
	v_sub_nc_u16 v75, v88, v75
	v_sub_nc_u16 v64, v92, v69
	v_lshlrev_b32_sdwa v115, v61, v62 dst_sel:DWORD dst_unused:UNUSED_PAD src0_sel:DWORD src1_sel:BYTE_0
	v_sub_nc_u16 v62, v87, v76
	v_lshlrev_b32_sdwa v116, v61, v63 dst_sel:DWORD dst_unused:UNUSED_PAD src0_sel:DWORD src1_sel:BYTE_0
	;; [unrolled: 2-line block ×3, first 2 shown]
	v_lshlrev_b32_sdwa v64, v61, v64 dst_sel:DWORD dst_unused:UNUSED_PAD src0_sel:DWORD src1_sel:BYTE_0
	v_lshlrev_b32_sdwa v118, v61, v62 dst_sel:DWORD dst_unused:UNUSED_PAD src0_sel:DWORD src1_sel:BYTE_0
	s_clause 0x1
	global_load_dwordx4 v[67:70], v114, s[8:9]
	global_load_dwordx4 v[71:74], v64, s[8:9]
	v_lshlrev_b32_sdwa v61, v61, v63 dst_sel:DWORD dst_unused:UNUSED_PAD src0_sel:DWORD src1_sel:BYTE_0
	s_clause 0x4
	global_load_dwordx4 v[75:78], v115, s[8:9]
	global_load_dwordx4 v[79:82], v116, s[8:9]
	;; [unrolled: 1-line block ×5, first 2 shown]
	v_and_b32_e32 v0, 0xffff, v0
	s_waitcnt vmcnt(0) lgkmcnt(0)
	s_barrier
	buffer_gl0_inv
	v_mul_f64 v[62:63], v[11:12], v[69:70]
	v_mul_f64 v[69:70], v[9:10], v[69:70]
	v_mul_f64 v[83:84], v[19:20], v[73:74]
	v_mul_f64 v[73:74], v[17:18], v[73:74]
	v_mul_f64 v[99:100], v[15:16], v[77:78]
	v_mul_f64 v[77:78], v[13:14], v[77:78]
	v_mul_f64 v[101:102], v[35:36], v[81:82]
	v_mul_f64 v[81:82], v[33:34], v[81:82]
	v_mul_f64 v[103:104], v[23:24], v[89:90]
	v_mul_f64 v[89:90], v[21:22], v[89:90]
	v_mul_f64 v[105:106], v[39:40], v[93:94]
	v_mul_f64 v[93:94], v[37:38], v[93:94]
	v_mul_f64 v[107:108], v[51:52], v[97:98]
	v_mul_f64 v[97:98], v[49:50], v[97:98]
	v_fma_f64 v[9:10], v[9:10], v[67:68], -v[62:63]
	v_fma_f64 v[11:12], v[11:12], v[67:68], v[69:70]
	v_fma_f64 v[17:18], v[17:18], v[71:72], -v[83:84]
	v_fma_f64 v[19:20], v[19:20], v[71:72], v[73:74]
	;; [unrolled: 2-line block ×7, first 2 shown]
	v_and_b32_e32 v13, 0xffff, v109
	v_and_b32_e32 v74, 0xffff, v110
	v_mad_u32_u24 v73, 0x1a0, v13, 0
	v_add_f64 v[9:10], v[5:6], -v[9:10]
	v_add_f64 v[11:12], v[7:8], -v[11:12]
	;; [unrolled: 1-line block ×14, first 2 shown]
	v_mad_u32_u24 v68, 0x1a0, v0, 0
	v_and_b32_e32 v62, 0xffff, v111
	v_and_b32_e32 v63, 0xffff, v112
	;; [unrolled: 1-line block ×3, first 2 shown]
	v_mad_u32_u24 v69, 0x1a0, v74, 0
	v_add3_u32 v64, v68, v64, v59
	v_mad_u32_u24 v62, 0x1a0, v62, 0
	v_mad_u32_u24 v63, 0x1a0, v63, 0
	v_fma_f64 v[5:6], v[5:6], 2.0, -v[9:10]
	v_fma_f64 v[7:8], v[7:8], 2.0, -v[11:12]
	;; [unrolled: 1-line block ×14, first 2 shown]
	v_mad_u32_u24 v67, 0x1a0, v67, 0
	v_add3_u32 v4, v73, v114, v59
	v_add3_u32 v68, v69, v115, v59
	;; [unrolled: 1-line block ×5, first 2 shown]
	ds_write_b128 v4, v[9:12] offset:208
	ds_write_b128 v4, v[5:8]
	ds_write_b128 v64, v[13:16] offset:208
	ds_write_b128 v64, v[29:32]
	ds_write_b128 v68, v[25:28]
	ds_write_b128 v68, v[17:20] offset:208
	ds_write_b128 v62, v[41:44]
	ds_write_b128 v62, v[21:24] offset:208
	ds_write_b128 v63, v[45:48]
	ds_write_b128 v63, v[33:36] offset:208
	ds_write_b128 v67, v[53:56]
	ds_write_b128 v67, v[37:40] offset:208
	s_and_saveexec_b32 s1, s0
	s_cbranch_execz .LBB0_17
; %bb.16:
	v_and_b32_e32 v4, 0xffff, v60
	v_mad_u32_u24 v4, 0x1a0, v4, 0
	v_add3_u32 v4, v4, v61, v59
	ds_write_b128 v4, v[0:3]
	ds_write_b128 v4, v[49:52] offset:208
.LBB0_17:
	s_or_b32 exec_lo, exec_lo, s1
	v_cmp_gt_u32_e64 s0, 26, v86
	s_waitcnt lgkmcnt(0)
	s_barrier
	buffer_gl0_inv
                                        ; implicit-def: $vgpr63_vgpr64
                                        ; implicit-def: $vgpr59_vgpr60
	s_and_saveexec_b32 s1, s0
	s_cbranch_execnz .LBB0_20
; %bb.18:
	s_or_b32 exec_lo, exec_lo, s1
	s_and_b32 s0, vcc_lo, s0
	s_and_saveexec_b32 s1, s0
	s_cbranch_execnz .LBB0_21
.LBB0_19:
	s_endpgm
.LBB0_20:
	ds_read_b128 v[5:8], v58
	ds_read_b128 v[9:12], v57 offset:416
	ds_read_b128 v[29:32], v57 offset:832
	ds_read_b128 v[13:16], v57 offset:1248
	ds_read_b128 v[25:28], v57 offset:1664
	ds_read_b128 v[17:20], v57 offset:2080
	ds_read_b128 v[41:44], v57 offset:2496
	ds_read_b128 v[21:24], v57 offset:2912
	ds_read_b128 v[45:48], v57 offset:3328
	ds_read_b128 v[33:36], v57 offset:3744
	ds_read_b128 v[53:56], v57 offset:4160
	ds_read_b128 v[37:40], v57 offset:4576
	ds_read_b128 v[0:3], v57 offset:4992
	ds_read_b128 v[49:52], v57 offset:5408
	ds_read_b128 v[61:64], v57 offset:5824
	ds_read_b128 v[57:60], v57 offset:6240
	s_or_b32 exec_lo, exec_lo, s1
	s_and_b32 s0, vcc_lo, s0
	s_and_saveexec_b32 s1, s0
	s_cbranch_execz .LBB0_19
.LBB0_21:
	v_mul_u32_u24_e32 v4, 15, v86
	s_mov_b32 s0, 0x667f3bcd
	s_mov_b32 s1, 0x3fe6a09e
	s_mov_b32 s5, 0xbfe6a09e
	s_mov_b32 s4, s0
	v_lshlrev_b32_e32 v4, 4, v4
	s_mov_b32 s6, 0xcf328d46
	s_mov_b32 s7, 0x3fed906b
	;; [unrolled: 1-line block ×4, first 2 shown]
	s_clause 0xe
	global_load_dwordx4 v[67:70], v4, s[8:9] offset:224
	global_load_dwordx4 v[71:74], v4, s[8:9] offset:352
	;; [unrolled: 1-line block ×15, first 2 shown]
	s_mov_b32 s8, 0xa6aea964
	s_mov_b32 s9, 0x3fd87de2
	;; [unrolled: 1-line block ×4, first 2 shown]
	s_waitcnt vmcnt(14) lgkmcnt(13)
	v_mul_f64 v[83:84], v[31:32], v[69:70]
	s_waitcnt vmcnt(13) lgkmcnt(5)
	v_mul_f64 v[130:131], v[55:56], v[73:74]
	s_waitcnt vmcnt(12)
	v_mul_f64 v[132:133], v[43:44], v[75:76]
	s_waitcnt vmcnt(11) lgkmcnt(1)
	v_mul_f64 v[134:135], v[63:64], v[79:80]
	v_mul_f64 v[69:70], v[29:30], v[69:70]
	;; [unrolled: 1-line block ×5, first 2 shown]
	s_waitcnt vmcnt(10)
	v_mul_f64 v[136:137], v[27:28], v[88:89]
	s_waitcnt vmcnt(9)
	v_mul_f64 v[138:139], v[2:3], v[92:93]
	;; [unrolled: 2-line block ×10, first 2 shown]
	s_waitcnt vmcnt(0) lgkmcnt(0)
	v_mul_f64 v[156:157], v[59:60], v[126:127]
	v_mul_f64 v[116:117], v[13:14], v[116:117]
	;; [unrolled: 1-line block ×12, first 2 shown]
	v_fma_f64 v[29:30], v[29:30], v[67:68], -v[83:84]
	v_fma_f64 v[53:54], v[53:54], v[71:72], -v[130:131]
	v_fma_f64 v[77:78], v[41:42], v[77:78], v[132:133]
	v_fma_f64 v[81:82], v[61:62], v[81:82], v[134:135]
	;; [unrolled: 1-line block ×4, first 2 shown]
	v_fma_f64 v[41:42], v[41:42], v[75:76], -v[43:44]
	v_fma_f64 v[43:44], v[61:62], v[79:80], -v[63:64]
	;; [unrolled: 1-line block ×4, first 2 shown]
	v_fma_f64 v[61:62], v[45:46], v[96:97], v[140:141]
	v_fma_f64 v[9:10], v[9:10], v[98:99], -v[142:143]
	v_fma_f64 v[33:34], v[33:34], v[102:103], -v[144:145]
	v_fma_f64 v[63:64], v[17:18], v[108:109], v[146:147]
	v_fma_f64 v[67:68], v[49:50], v[112:113], v[148:149]
	v_fma_f64 v[13:14], v[13:14], v[114:115], -v[150:151]
	v_fma_f64 v[37:38], v[37:38], v[118:119], -v[152:153]
	v_fma_f64 v[69:70], v[21:22], v[124:125], v[154:155]
	v_fma_f64 v[71:72], v[57:58], v[128:129], v[156:157]
	;; [unrolled: 1-line block ×4, first 2 shown]
	v_fma_f64 v[21:22], v[21:22], v[122:123], -v[23:24]
	v_fma_f64 v[23:24], v[57:58], v[126:127], -v[59:60]
	v_fma_f64 v[11:12], v[11:12], v[98:99], v[100:101]
	v_fma_f64 v[35:36], v[35:36], v[102:103], v[104:105]
	v_fma_f64 v[17:18], v[17:18], v[106:107], -v[19:20]
	v_fma_f64 v[19:20], v[49:50], v[110:111], -v[51:52]
	;; [unrolled: 1-line block ×3, first 2 shown]
	v_fma_f64 v[27:28], v[27:28], v[86:87], v[88:89]
	v_fma_f64 v[2:3], v[2:3], v[90:91], v[92:93]
	v_add_f64 v[47:48], v[29:30], -v[53:54]
	v_add_f64 v[49:50], v[77:78], -v[81:82]
	;; [unrolled: 1-line block ×16, first 2 shown]
	v_fma_f64 v[29:30], v[29:30], 2.0, -v[47:48]
	v_add_f64 v[59:60], v[47:48], -v[49:50]
	v_add_f64 v[61:62], v[51:52], v[43:44]
	v_fma_f64 v[41:42], v[41:42], 2.0, -v[43:44]
	v_add_f64 v[67:68], v[0:1], v[53:54]
	v_fma_f64 v[7:8], v[7:8], 2.0, -v[53:54]
	v_add_f64 v[71:72], v[33:34], -v[55:56]
	v_fma_f64 v[9:10], v[9:10], 2.0, -v[33:34]
	v_fma_f64 v[13:14], v[13:14], 2.0, -v[37:38]
	v_add_f64 v[73:74], v[37:38], -v[57:58]
	v_fma_f64 v[0:1], v[25:26], 2.0, -v[0:1]
	v_fma_f64 v[15:16], v[15:16], 2.0, -v[39:40]
	v_add_f64 v[75:76], v[39:40], v[23:24]
	v_fma_f64 v[21:22], v[21:22], 2.0, -v[23:24]
	v_fma_f64 v[23:24], v[69:70], 2.0, -v[57:58]
	;; [unrolled: 1-line block ×3, first 2 shown]
	v_add_f64 v[79:80], v[35:36], v[19:20]
	v_fma_f64 v[17:18], v[17:18], 2.0, -v[19:20]
	v_fma_f64 v[19:20], v[31:32], 2.0, -v[51:52]
	v_add_f64 v[81:82], v[45:46], -v[2:3]
	v_fma_f64 v[2:3], v[27:28], 2.0, -v[2:3]
	v_fma_f64 v[27:28], v[77:78], 2.0, -v[49:50]
	;; [unrolled: 1-line block ×8, first 2 shown]
	v_add_f64 v[41:42], v[29:30], -v[41:42]
	v_fma_f64 v[49:50], v[61:62], s[0:1], v[67:68]
	v_fma_f64 v[37:38], v[37:38], 2.0, -v[73:74]
	v_fma_f64 v[51:52], v[73:74], s[0:1], v[71:72]
	v_fma_f64 v[39:40], v[39:40], 2.0, -v[75:76]
	v_add_f64 v[21:22], v[13:14], -v[21:22]
	v_add_f64 v[23:24], v[15:16], -v[23:24]
	v_fma_f64 v[35:36], v[35:36], 2.0, -v[79:80]
	v_add_f64 v[17:18], v[9:10], -v[17:18]
	v_fma_f64 v[53:54], v[75:76], s[0:1], v[79:80]
	v_fma_f64 v[45:46], v[45:46], 2.0, -v[81:82]
	v_add_f64 v[2:3], v[7:8], -v[2:3]
	v_add_f64 v[27:28], v[19:20], -v[27:28]
	v_add_f64 v[31:32], v[11:12], -v[31:32]
	v_add_f64 v[0:1], v[4:5], -v[0:1]
	v_fma_f64 v[55:56], v[59:60], s[0:1], v[81:82]
	v_fma_f64 v[57:58], v[47:48], s[4:5], v[43:44]
	;; [unrolled: 1-line block ×5, first 2 shown]
	v_fma_f64 v[13:14], v[13:14], 2.0, -v[21:22]
	v_fma_f64 v[15:16], v[15:16], 2.0, -v[23:24]
	v_fma_f64 v[69:70], v[39:40], s[4:5], v[35:36]
	v_fma_f64 v[53:54], v[73:74], s[0:1], v[53:54]
	;; [unrolled: 1-line block ×3, first 2 shown]
	v_fma_f64 v[6:7], v[7:8], 2.0, -v[2:3]
	v_fma_f64 v[19:20], v[19:20], 2.0, -v[27:28]
	;; [unrolled: 1-line block ×3, first 2 shown]
	v_add_f64 v[73:74], v[0:1], -v[27:28]
	v_fma_f64 v[4:5], v[4:5], 2.0, -v[0:1]
	v_fma_f64 v[27:28], v[29:30], 2.0, -v[41:42]
	;; [unrolled: 1-line block ×3, first 2 shown]
	v_fma_f64 v[55:56], v[61:62], s[4:5], v[55:56]
	v_add_f64 v[59:60], v[41:42], v[2:3]
	v_add_f64 v[61:62], v[17:18], -v[23:24]
	v_add_f64 v[21:22], v[31:32], v[21:22]
	v_fma_f64 v[57:58], v[25:26], s[0:1], v[57:58]
	v_fma_f64 v[23:24], v[39:40], s[4:5], v[63:64]
	v_fma_f64 v[67:68], v[67:68], 2.0, -v[49:50]
	v_add_co_u32 v39, vcc_lo, s2, v65
	v_fma_f64 v[25:26], v[37:38], s[0:1], v[69:70]
	v_fma_f64 v[29:30], v[79:80], 2.0, -v[53:54]
	v_fma_f64 v[63:64], v[47:48], s[4:5], v[77:78]
	v_add_f64 v[40:41], v[6:7], -v[19:20]
	v_add_f64 v[12:13], v[8:9], -v[13:14]
	v_fma_f64 v[19:20], v[71:72], 2.0, -v[51:52]
	v_fma_f64 v[75:76], v[0:1], 2.0, -v[73:74]
	v_add_f64 v[47:48], v[4:5], -v[27:28]
	v_add_f64 v[14:15], v[10:11], -v[15:16]
	v_fma_f64 v[69:70], v[81:82], 2.0, -v[55:56]
	v_fma_f64 v[71:72], v[2:3], 2.0, -v[59:60]
	;; [unrolled: 1-line block ×6, first 2 shown]
	v_fma_f64 v[27:28], v[21:22], s[0:1], v[59:60]
	v_fma_f64 v[42:43], v[61:62], s[0:1], v[73:74]
	;; [unrolled: 1-line block ×4, first 2 shown]
	v_fma_f64 v[35:36], v[35:36], 2.0, -v[25:26]
	v_fma_f64 v[83:84], v[29:30], s[10:11], v[67:68]
	v_fma_f64 v[79:80], v[45:46], 2.0, -v[63:64]
	v_fma_f64 v[44:45], v[25:26], s[8:9], v[57:58]
	v_fma_f64 v[81:82], v[23:24], s[8:9], v[63:64]
	v_fma_f64 v[92:93], v[6:7], 2.0, -v[40:41]
	v_fma_f64 v[98:99], v[8:9], 2.0, -v[12:13]
	v_add_co_ci_u32_e32 v46, vcc_lo, s3, v66, vcc_lo
	v_fma_f64 v[94:95], v[10:11], 2.0, -v[14:15]
	v_fma_f64 v[96:97], v[4:5], 2.0, -v[47:48]
	v_fma_f64 v[86:87], v[19:20], s[10:11], v[69:70]
	v_fma_f64 v[90:91], v[37:38], s[4:5], v[75:76]
	;; [unrolled: 1-line block ×3, first 2 shown]
	v_add_f64 v[10:11], v[40:41], v[12:13]
	v_add_f64 v[8:9], v[47:48], -v[14:15]
	v_fma_f64 v[6:7], v[61:62], s[0:1], v[27:28]
	v_fma_f64 v[4:5], v[21:22], s[4:5], v[42:43]
	;; [unrolled: 1-line block ×4, first 2 shown]
	v_add_co_u32 v65, vcc_lo, v39, v85
	v_fma_f64 v[100:101], v[35:36], s[12:13], v[77:78]
	v_fma_f64 v[18:19], v[19:20], s[6:7], v[83:84]
	;; [unrolled: 1-line block ×5, first 2 shown]
	v_add_co_ci_u32_e32 v66, vcc_lo, 0, v46, vcc_lo
	v_add_co_u32 v81, vcc_lo, 0x800, v65
	v_add_f64 v[26:27], v[92:93], -v[94:95]
	v_add_f64 v[24:25], v[96:97], -v[98:99]
	v_fma_f64 v[16:17], v[29:30], s[12:13], v[86:87]
	v_fma_f64 v[20:21], v[31:32], s[4:5], v[90:91]
	;; [unrolled: 1-line block ×3, first 2 shown]
	v_fma_f64 v[42:43], v[40:41], 2.0, -v[10:11]
	v_fma_f64 v[40:41], v[47:48], 2.0, -v[8:9]
	;; [unrolled: 1-line block ×3, first 2 shown]
	v_add_co_ci_u32_e32 v82, vcc_lo, 0, v66, vcc_lo
	v_fma_f64 v[30:31], v[33:34], s[8:9], v[100:101]
	v_fma_f64 v[32:33], v[55:56], 2.0, -v[0:1]
	v_fma_f64 v[28:29], v[35:36], s[10:11], v[102:103]
	v_fma_f64 v[36:37], v[73:74], 2.0, -v[4:5]
	v_fma_f64 v[34:35], v[49:50], 2.0, -v[2:3]
	;; [unrolled: 1-line block ×5, first 2 shown]
	v_add_co_u32 v67, vcc_lo, 0x1000, v65
	v_fma_f64 v[58:59], v[92:93], 2.0, -v[26:27]
	v_fma_f64 v[56:57], v[96:97], 2.0, -v[24:25]
	;; [unrolled: 1-line block ×5, first 2 shown]
	v_add_co_ci_u32_e32 v68, vcc_lo, 0, v66, vcc_lo
	v_add_co_u32 v69, vcc_lo, 0x1800, v65
	v_add_co_ci_u32_e32 v70, vcc_lo, 0, v66, vcc_lo
	v_fma_f64 v[62:63], v[77:78], 2.0, -v[30:31]
	v_fma_f64 v[60:61], v[79:80], 2.0, -v[28:29]
	global_store_dwordx4 v[67:68], v[8:11], off offset:896
	global_store_dwordx4 v[67:68], v[4:7], off offset:1728
	;; [unrolled: 1-line block ×9, first 2 shown]
	global_store_dwordx4 v[65:66], v[56:59], off
	global_store_dwordx4 v[65:66], v[52:55], off offset:832
	global_store_dwordx4 v[65:66], v[48:51], off offset:1248
	;; [unrolled: 1-line block ×6, first 2 shown]
	s_endpgm
	.section	.rodata,"a",@progbits
	.p2align	6, 0x0
	.amdhsa_kernel fft_rtc_fwd_len416_factors_13_2_16_wgs_64_tpt_32_dp_ip_CI_unitstride_sbrr_dirReg
		.amdhsa_group_segment_fixed_size 0
		.amdhsa_private_segment_fixed_size 0
		.amdhsa_kernarg_size 88
		.amdhsa_user_sgpr_count 6
		.amdhsa_user_sgpr_private_segment_buffer 1
		.amdhsa_user_sgpr_dispatch_ptr 0
		.amdhsa_user_sgpr_queue_ptr 0
		.amdhsa_user_sgpr_kernarg_segment_ptr 1
		.amdhsa_user_sgpr_dispatch_id 0
		.amdhsa_user_sgpr_flat_scratch_init 0
		.amdhsa_user_sgpr_private_segment_size 0
		.amdhsa_wavefront_size32 1
		.amdhsa_uses_dynamic_stack 0
		.amdhsa_system_sgpr_private_segment_wavefront_offset 0
		.amdhsa_system_sgpr_workgroup_id_x 1
		.amdhsa_system_sgpr_workgroup_id_y 0
		.amdhsa_system_sgpr_workgroup_id_z 0
		.amdhsa_system_sgpr_workgroup_info 0
		.amdhsa_system_vgpr_workitem_id 0
		.amdhsa_next_free_vgpr 193
		.amdhsa_next_free_sgpr 42
		.amdhsa_reserve_vcc 1
		.amdhsa_reserve_flat_scratch 0
		.amdhsa_float_round_mode_32 0
		.amdhsa_float_round_mode_16_64 0
		.amdhsa_float_denorm_mode_32 3
		.amdhsa_float_denorm_mode_16_64 3
		.amdhsa_dx10_clamp 1
		.amdhsa_ieee_mode 1
		.amdhsa_fp16_overflow 0
		.amdhsa_workgroup_processor_mode 1
		.amdhsa_memory_ordered 1
		.amdhsa_forward_progress 0
		.amdhsa_shared_vgpr_count 0
		.amdhsa_exception_fp_ieee_invalid_op 0
		.amdhsa_exception_fp_denorm_src 0
		.amdhsa_exception_fp_ieee_div_zero 0
		.amdhsa_exception_fp_ieee_overflow 0
		.amdhsa_exception_fp_ieee_underflow 0
		.amdhsa_exception_fp_ieee_inexact 0
		.amdhsa_exception_int_div_zero 0
	.end_amdhsa_kernel
	.text
.Lfunc_end0:
	.size	fft_rtc_fwd_len416_factors_13_2_16_wgs_64_tpt_32_dp_ip_CI_unitstride_sbrr_dirReg, .Lfunc_end0-fft_rtc_fwd_len416_factors_13_2_16_wgs_64_tpt_32_dp_ip_CI_unitstride_sbrr_dirReg
                                        ; -- End function
	.section	.AMDGPU.csdata,"",@progbits
; Kernel info:
; codeLenInByte = 9040
; NumSgprs: 44
; NumVgprs: 193
; ScratchSize: 0
; MemoryBound: 1
; FloatMode: 240
; IeeeMode: 1
; LDSByteSize: 0 bytes/workgroup (compile time only)
; SGPRBlocks: 5
; VGPRBlocks: 24
; NumSGPRsForWavesPerEU: 44
; NumVGPRsForWavesPerEU: 193
; Occupancy: 4
; WaveLimiterHint : 1
; COMPUTE_PGM_RSRC2:SCRATCH_EN: 0
; COMPUTE_PGM_RSRC2:USER_SGPR: 6
; COMPUTE_PGM_RSRC2:TRAP_HANDLER: 0
; COMPUTE_PGM_RSRC2:TGID_X_EN: 1
; COMPUTE_PGM_RSRC2:TGID_Y_EN: 0
; COMPUTE_PGM_RSRC2:TGID_Z_EN: 0
; COMPUTE_PGM_RSRC2:TIDIG_COMP_CNT: 0
	.text
	.p2alignl 6, 3214868480
	.fill 48, 4, 3214868480
	.type	__hip_cuid_58645e519ba33ed1,@object ; @__hip_cuid_58645e519ba33ed1
	.section	.bss,"aw",@nobits
	.globl	__hip_cuid_58645e519ba33ed1
__hip_cuid_58645e519ba33ed1:
	.byte	0                               ; 0x0
	.size	__hip_cuid_58645e519ba33ed1, 1

	.ident	"AMD clang version 19.0.0git (https://github.com/RadeonOpenCompute/llvm-project roc-6.4.0 25133 c7fe45cf4b819c5991fe208aaa96edf142730f1d)"
	.section	".note.GNU-stack","",@progbits
	.addrsig
	.addrsig_sym __hip_cuid_58645e519ba33ed1
	.amdgpu_metadata
---
amdhsa.kernels:
  - .args:
      - .actual_access:  read_only
        .address_space:  global
        .offset:         0
        .size:           8
        .value_kind:     global_buffer
      - .offset:         8
        .size:           8
        .value_kind:     by_value
      - .actual_access:  read_only
        .address_space:  global
        .offset:         16
        .size:           8
        .value_kind:     global_buffer
      - .actual_access:  read_only
        .address_space:  global
        .offset:         24
        .size:           8
        .value_kind:     global_buffer
      - .offset:         32
        .size:           8
        .value_kind:     by_value
      - .actual_access:  read_only
        .address_space:  global
        .offset:         40
        .size:           8
        .value_kind:     global_buffer
      - .actual_access:  read_only
        .address_space:  global
        .offset:         48
        .size:           8
        .value_kind:     global_buffer
      - .offset:         56
        .size:           4
        .value_kind:     by_value
      - .actual_access:  read_only
        .address_space:  global
        .offset:         64
        .size:           8
        .value_kind:     global_buffer
      - .actual_access:  read_only
        .address_space:  global
        .offset:         72
        .size:           8
        .value_kind:     global_buffer
      - .address_space:  global
        .offset:         80
        .size:           8
        .value_kind:     global_buffer
    .group_segment_fixed_size: 0
    .kernarg_segment_align: 8
    .kernarg_segment_size: 88
    .language:       OpenCL C
    .language_version:
      - 2
      - 0
    .max_flat_workgroup_size: 64
    .name:           fft_rtc_fwd_len416_factors_13_2_16_wgs_64_tpt_32_dp_ip_CI_unitstride_sbrr_dirReg
    .private_segment_fixed_size: 0
    .sgpr_count:     44
    .sgpr_spill_count: 0
    .symbol:         fft_rtc_fwd_len416_factors_13_2_16_wgs_64_tpt_32_dp_ip_CI_unitstride_sbrr_dirReg.kd
    .uniform_work_group_size: 1
    .uses_dynamic_stack: false
    .vgpr_count:     193
    .vgpr_spill_count: 0
    .wavefront_size: 32
    .workgroup_processor_mode: 1
amdhsa.target:   amdgcn-amd-amdhsa--gfx1030
amdhsa.version:
  - 1
  - 2
...

	.end_amdgpu_metadata
